;; amdgpu-corpus repo=ROCm/rocFFT kind=compiled arch=gfx1030 opt=O3
	.text
	.amdgcn_target "amdgcn-amd-amdhsa--gfx1030"
	.amdhsa_code_object_version 6
	.protected	fft_rtc_fwd_len840_factors_2_2_2_3_5_7_wgs_56_tpt_56_halfLds_sp_ip_CI_unitstride_sbrr_C2R_dirReg ; -- Begin function fft_rtc_fwd_len840_factors_2_2_2_3_5_7_wgs_56_tpt_56_halfLds_sp_ip_CI_unitstride_sbrr_C2R_dirReg
	.globl	fft_rtc_fwd_len840_factors_2_2_2_3_5_7_wgs_56_tpt_56_halfLds_sp_ip_CI_unitstride_sbrr_C2R_dirReg
	.p2align	8
	.type	fft_rtc_fwd_len840_factors_2_2_2_3_5_7_wgs_56_tpt_56_halfLds_sp_ip_CI_unitstride_sbrr_C2R_dirReg,@function
fft_rtc_fwd_len840_factors_2_2_2_3_5_7_wgs_56_tpt_56_halfLds_sp_ip_CI_unitstride_sbrr_C2R_dirReg: ; @fft_rtc_fwd_len840_factors_2_2_2_3_5_7_wgs_56_tpt_56_halfLds_sp_ip_CI_unitstride_sbrr_C2R_dirReg
; %bb.0:
	s_clause 0x2
	s_load_dwordx4 s[8:11], s[4:5], 0x0
	s_load_dwordx2 s[2:3], s[4:5], 0x50
	s_load_dwordx2 s[12:13], s[4:5], 0x18
	v_mul_u32_u24_e32 v1, 0x493, v0
	v_mov_b32_e32 v3, 0
	v_add_nc_u32_sdwa v5, s6, v1 dst_sel:DWORD dst_unused:UNUSED_PAD src0_sel:DWORD src1_sel:WORD_1
	v_mov_b32_e32 v1, 0
	v_mov_b32_e32 v6, v3
	v_mov_b32_e32 v2, 0
	s_waitcnt lgkmcnt(0)
	v_cmp_lt_u64_e64 s0, s[10:11], 2
	s_and_b32 vcc_lo, exec_lo, s0
	s_cbranch_vccnz .LBB0_8
; %bb.1:
	s_load_dwordx2 s[0:1], s[4:5], 0x10
	v_mov_b32_e32 v1, 0
	s_add_u32 s6, s12, 8
	v_mov_b32_e32 v2, 0
	s_addc_u32 s7, s13, 0
	s_mov_b64 s[16:17], 1
	s_waitcnt lgkmcnt(0)
	s_add_u32 s14, s0, 8
	s_addc_u32 s15, s1, 0
.LBB0_2:                                ; =>This Inner Loop Header: Depth=1
	s_load_dwordx2 s[18:19], s[14:15], 0x0
                                        ; implicit-def: $vgpr7_vgpr8
	s_mov_b32 s0, exec_lo
	s_waitcnt lgkmcnt(0)
	v_or_b32_e32 v4, s19, v6
	v_cmpx_ne_u64_e32 0, v[3:4]
	s_xor_b32 s1, exec_lo, s0
	s_cbranch_execz .LBB0_4
; %bb.3:                                ;   in Loop: Header=BB0_2 Depth=1
	v_cvt_f32_u32_e32 v4, s18
	v_cvt_f32_u32_e32 v7, s19
	s_sub_u32 s0, 0, s18
	s_subb_u32 s20, 0, s19
	v_fmac_f32_e32 v4, 0x4f800000, v7
	v_rcp_f32_e32 v4, v4
	v_mul_f32_e32 v4, 0x5f7ffffc, v4
	v_mul_f32_e32 v7, 0x2f800000, v4
	v_trunc_f32_e32 v7, v7
	v_fmac_f32_e32 v4, 0xcf800000, v7
	v_cvt_u32_f32_e32 v7, v7
	v_cvt_u32_f32_e32 v4, v4
	v_mul_lo_u32 v8, s0, v7
	v_mul_hi_u32 v9, s0, v4
	v_mul_lo_u32 v10, s20, v4
	v_add_nc_u32_e32 v8, v9, v8
	v_mul_lo_u32 v9, s0, v4
	v_add_nc_u32_e32 v8, v8, v10
	v_mul_hi_u32 v10, v4, v9
	v_mul_lo_u32 v11, v4, v8
	v_mul_hi_u32 v12, v4, v8
	v_mul_hi_u32 v13, v7, v9
	v_mul_lo_u32 v9, v7, v9
	v_mul_hi_u32 v14, v7, v8
	v_mul_lo_u32 v8, v7, v8
	v_add_co_u32 v10, vcc_lo, v10, v11
	v_add_co_ci_u32_e32 v11, vcc_lo, 0, v12, vcc_lo
	v_add_co_u32 v9, vcc_lo, v10, v9
	v_add_co_ci_u32_e32 v9, vcc_lo, v11, v13, vcc_lo
	v_add_co_ci_u32_e32 v10, vcc_lo, 0, v14, vcc_lo
	v_add_co_u32 v8, vcc_lo, v9, v8
	v_add_co_ci_u32_e32 v9, vcc_lo, 0, v10, vcc_lo
	v_add_co_u32 v4, vcc_lo, v4, v8
	v_add_co_ci_u32_e32 v7, vcc_lo, v7, v9, vcc_lo
	v_mul_hi_u32 v8, s0, v4
	v_mul_lo_u32 v10, s20, v4
	v_mul_lo_u32 v9, s0, v7
	v_add_nc_u32_e32 v8, v8, v9
	v_mul_lo_u32 v9, s0, v4
	v_add_nc_u32_e32 v8, v8, v10
	v_mul_hi_u32 v10, v4, v9
	v_mul_lo_u32 v11, v4, v8
	v_mul_hi_u32 v12, v4, v8
	v_mul_hi_u32 v13, v7, v9
	v_mul_lo_u32 v9, v7, v9
	v_mul_hi_u32 v14, v7, v8
	v_mul_lo_u32 v8, v7, v8
	v_add_co_u32 v10, vcc_lo, v10, v11
	v_add_co_ci_u32_e32 v11, vcc_lo, 0, v12, vcc_lo
	v_add_co_u32 v9, vcc_lo, v10, v9
	v_add_co_ci_u32_e32 v9, vcc_lo, v11, v13, vcc_lo
	v_add_co_ci_u32_e32 v10, vcc_lo, 0, v14, vcc_lo
	v_add_co_u32 v8, vcc_lo, v9, v8
	v_add_co_ci_u32_e32 v9, vcc_lo, 0, v10, vcc_lo
	v_add_co_u32 v4, vcc_lo, v4, v8
	v_add_co_ci_u32_e32 v11, vcc_lo, v7, v9, vcc_lo
	v_mul_hi_u32 v13, v5, v4
	v_mad_u64_u32 v[9:10], null, v6, v4, 0
	v_mad_u64_u32 v[7:8], null, v5, v11, 0
	;; [unrolled: 1-line block ×3, first 2 shown]
	v_add_co_u32 v4, vcc_lo, v13, v7
	v_add_co_ci_u32_e32 v7, vcc_lo, 0, v8, vcc_lo
	v_add_co_u32 v4, vcc_lo, v4, v9
	v_add_co_ci_u32_e32 v4, vcc_lo, v7, v10, vcc_lo
	v_add_co_ci_u32_e32 v7, vcc_lo, 0, v12, vcc_lo
	v_add_co_u32 v4, vcc_lo, v4, v11
	v_add_co_ci_u32_e32 v9, vcc_lo, 0, v7, vcc_lo
	v_mul_lo_u32 v10, s19, v4
	v_mad_u64_u32 v[7:8], null, s18, v4, 0
	v_mul_lo_u32 v11, s18, v9
	v_sub_co_u32 v7, vcc_lo, v5, v7
	v_add3_u32 v8, v8, v11, v10
	v_sub_nc_u32_e32 v10, v6, v8
	v_subrev_co_ci_u32_e64 v10, s0, s19, v10, vcc_lo
	v_add_co_u32 v11, s0, v4, 2
	v_add_co_ci_u32_e64 v12, s0, 0, v9, s0
	v_sub_co_u32 v13, s0, v7, s18
	v_sub_co_ci_u32_e32 v8, vcc_lo, v6, v8, vcc_lo
	v_subrev_co_ci_u32_e64 v10, s0, 0, v10, s0
	v_cmp_le_u32_e32 vcc_lo, s18, v13
	v_cmp_eq_u32_e64 s0, s19, v8
	v_cndmask_b32_e64 v13, 0, -1, vcc_lo
	v_cmp_le_u32_e32 vcc_lo, s19, v10
	v_cndmask_b32_e64 v14, 0, -1, vcc_lo
	v_cmp_le_u32_e32 vcc_lo, s18, v7
	;; [unrolled: 2-line block ×3, first 2 shown]
	v_cndmask_b32_e64 v15, 0, -1, vcc_lo
	v_cmp_eq_u32_e32 vcc_lo, s19, v10
	v_cndmask_b32_e64 v7, v15, v7, s0
	v_cndmask_b32_e32 v10, v14, v13, vcc_lo
	v_add_co_u32 v13, vcc_lo, v4, 1
	v_add_co_ci_u32_e32 v14, vcc_lo, 0, v9, vcc_lo
	v_cmp_ne_u32_e32 vcc_lo, 0, v10
	v_cndmask_b32_e32 v8, v14, v12, vcc_lo
	v_cndmask_b32_e32 v10, v13, v11, vcc_lo
	v_cmp_ne_u32_e32 vcc_lo, 0, v7
	v_cndmask_b32_e32 v8, v9, v8, vcc_lo
	v_cndmask_b32_e32 v7, v4, v10, vcc_lo
.LBB0_4:                                ;   in Loop: Header=BB0_2 Depth=1
	s_andn2_saveexec_b32 s0, s1
	s_cbranch_execz .LBB0_6
; %bb.5:                                ;   in Loop: Header=BB0_2 Depth=1
	v_cvt_f32_u32_e32 v4, s18
	s_sub_i32 s1, 0, s18
	v_rcp_iflag_f32_e32 v4, v4
	v_mul_f32_e32 v4, 0x4f7ffffe, v4
	v_cvt_u32_f32_e32 v4, v4
	v_mul_lo_u32 v7, s1, v4
	v_mul_hi_u32 v7, v4, v7
	v_add_nc_u32_e32 v4, v4, v7
	v_mul_hi_u32 v4, v5, v4
	v_mul_lo_u32 v7, v4, s18
	v_add_nc_u32_e32 v8, 1, v4
	v_sub_nc_u32_e32 v7, v5, v7
	v_subrev_nc_u32_e32 v9, s18, v7
	v_cmp_le_u32_e32 vcc_lo, s18, v7
	v_cndmask_b32_e32 v7, v7, v9, vcc_lo
	v_cndmask_b32_e32 v4, v4, v8, vcc_lo
	v_cmp_le_u32_e32 vcc_lo, s18, v7
	v_add_nc_u32_e32 v8, 1, v4
	v_cndmask_b32_e32 v7, v4, v8, vcc_lo
	v_mov_b32_e32 v8, v3
.LBB0_6:                                ;   in Loop: Header=BB0_2 Depth=1
	s_or_b32 exec_lo, exec_lo, s0
	s_load_dwordx2 s[0:1], s[6:7], 0x0
	v_mul_lo_u32 v4, v8, s18
	v_mul_lo_u32 v11, v7, s19
	v_mad_u64_u32 v[9:10], null, v7, s18, 0
	s_add_u32 s16, s16, 1
	s_addc_u32 s17, s17, 0
	s_add_u32 s6, s6, 8
	s_addc_u32 s7, s7, 0
	;; [unrolled: 2-line block ×3, first 2 shown]
	v_add3_u32 v4, v10, v11, v4
	v_sub_co_u32 v5, vcc_lo, v5, v9
	v_sub_co_ci_u32_e32 v4, vcc_lo, v6, v4, vcc_lo
	s_waitcnt lgkmcnt(0)
	v_mul_lo_u32 v6, s1, v5
	v_mul_lo_u32 v4, s0, v4
	v_mad_u64_u32 v[1:2], null, s0, v5, v[1:2]
	v_cmp_ge_u64_e64 s0, s[16:17], s[10:11]
	s_and_b32 vcc_lo, exec_lo, s0
	v_add3_u32 v2, v6, v2, v4
	s_cbranch_vccnz .LBB0_9
; %bb.7:                                ;   in Loop: Header=BB0_2 Depth=1
	v_mov_b32_e32 v5, v7
	v_mov_b32_e32 v6, v8
	s_branch .LBB0_2
.LBB0_8:
	v_mov_b32_e32 v8, v6
	v_mov_b32_e32 v7, v5
.LBB0_9:
	s_lshl_b64 s[0:1], s[10:11], 3
	v_mul_hi_u32 v5, 0x4924925, v0
	s_add_u32 s0, s12, s0
	s_addc_u32 s1, s13, s1
	s_load_dwordx2 s[0:1], s[0:1], 0x0
	s_load_dwordx2 s[4:5], s[4:5], 0x20
	s_waitcnt lgkmcnt(0)
	v_mul_lo_u32 v3, s0, v8
	v_mul_lo_u32 v4, s1, v7
	v_mad_u64_u32 v[1:2], null, s0, v7, v[1:2]
	v_cmp_gt_u64_e32 vcc_lo, s[4:5], v[7:8]
	v_add3_u32 v2, v4, v2, v3
	v_mul_u32_u24_e32 v3, 56, v5
	v_lshlrev_b64 v[42:43], 3, v[1:2]
	v_sub_nc_u32_e32 v40, v0, v3
	s_and_saveexec_b32 s1, vcc_lo
	s_cbranch_execz .LBB0_13
; %bb.10:
	v_mov_b32_e32 v41, 0
	v_add_co_u32 v0, s0, s2, v42
	v_add_co_ci_u32_e64 v1, s0, s3, v43, s0
	v_lshlrev_b64 v[2:3], 3, v[40:41]
	v_or_b32_e32 v4, 0x1c0, v40
	v_mov_b32_e32 v5, v41
	v_lshl_add_u32 v32, v40, 3, 0
	s_mov_b32 s4, exec_lo
	v_add_co_u32 v2, s0, v0, v2
	v_add_co_ci_u32_e64 v3, s0, v1, v3, s0
	v_lshlrev_b64 v[4:5], 3, v[4:5]
	v_add_co_u32 v6, s0, 0x800, v2
	v_add_co_ci_u32_e64 v7, s0, 0, v3, s0
	v_add_co_u32 v24, s0, 0x1000, v2
	v_add_co_ci_u32_e64 v25, s0, 0, v3, s0
	;; [unrolled: 2-line block ×3, first 2 shown]
	s_clause 0x7
	global_load_dwordx2 v[8:9], v[2:3], off
	global_load_dwordx2 v[10:11], v[2:3], off offset:448
	global_load_dwordx2 v[12:13], v[2:3], off offset:896
	;; [unrolled: 1-line block ×7, first 2 shown]
	v_add_co_u32 v2, s0, 0x1800, v2
	v_add_co_ci_u32_e64 v3, s0, 0, v3, s0
	s_clause 0x6
	global_load_dwordx2 v[26:27], v[24:25], off offset:384
	global_load_dwordx2 v[28:29], v[24:25], off offset:832
	global_load_dwordx2 v[4:5], v[4:5], off
	global_load_dwordx2 v[6:7], v[6:7], off offset:1984
	global_load_dwordx2 v[30:31], v[24:25], off offset:1280
	;; [unrolled: 1-line block ×4, first 2 shown]
	v_add_nc_u32_e32 v33, 0x400, v32
	v_add_nc_u32_e32 v34, 0x800, v32
	;; [unrolled: 1-line block ×3, first 2 shown]
	s_waitcnt vmcnt(13)
	ds_write2_b64 v32, v[8:9], v[10:11] offset1:56
	s_waitcnt vmcnt(11)
	ds_write2_b64 v32, v[12:13], v[14:15] offset0:112 offset1:168
	s_waitcnt vmcnt(9)
	ds_write2_b64 v33, v[16:17], v[18:19] offset0:96 offset1:152
	;; [unrolled: 2-line block ×4, first 2 shown]
	ds_write2_b64 v35, v[26:27], v[28:29] offset0:48 offset1:104
	s_waitcnt vmcnt(1)
	ds_write2_b64 v35, v[30:31], v[24:25] offset0:160 offset1:216
	s_waitcnt vmcnt(0)
	ds_write_b64 v32, v[2:3] offset:6272
	v_cmpx_eq_u32_e32 55, v40
	s_cbranch_execz .LBB0_12
; %bb.11:
	v_add_co_u32 v0, s0, 0x1800, v0
	v_add_co_ci_u32_e64 v1, s0, 0, v1, s0
	v_mov_b32_e32 v40, 55
	global_load_dwordx2 v[0:1], v[0:1], off offset:576
	s_waitcnt vmcnt(0)
	ds_write_b64 v41, v[0:1] offset:6720
.LBB0_12:
	s_or_b32 exec_lo, exec_lo, s4
.LBB0_13:
	s_or_b32 exec_lo, exec_lo, s1
	v_lshlrev_b32_e32 v0, 3, v40
	s_waitcnt lgkmcnt(0)
	s_barrier
	buffer_gl0_inv
	s_add_u32 s1, s8, 0x1a30
	v_add_nc_u32_e32 v48, 0, v0
	v_sub_nc_u32_e32 v4, 0, v0
	s_addc_u32 s4, s9, 0
	s_mov_b32 s5, exec_lo
                                        ; implicit-def: $vgpr2_vgpr3
	ds_read_b32 v5, v48
	ds_read_b32 v6, v4 offset:6720
	s_waitcnt lgkmcnt(0)
	v_add_f32_e32 v0, v6, v5
	v_sub_f32_e32 v1, v5, v6
	v_cmpx_ne_u32_e32 0, v40
	s_xor_b32 s5, exec_lo, s5
	s_cbranch_execz .LBB0_15
; %bb.14:
	v_mov_b32_e32 v41, 0
	v_add_f32_e32 v7, v6, v5
	v_sub_f32_e32 v8, v5, v6
	v_lshlrev_b64 v[0:1], 3, v[40:41]
	v_add_co_u32 v0, s0, s1, v0
	v_add_co_ci_u32_e64 v1, s0, s4, v1, s0
	global_load_dwordx2 v[2:3], v[0:1], off
	ds_read_b32 v0, v4 offset:6724
	ds_read_b32 v1, v48 offset:4
	s_waitcnt lgkmcnt(0)
	v_add_f32_e32 v9, v0, v1
	v_sub_f32_e32 v0, v1, v0
	s_waitcnt vmcnt(0)
	v_fma_f32 v5, -v8, v3, v7
	v_fma_f32 v6, v9, v3, -v0
	v_fma_f32 v10, v8, v3, v7
	v_fma_f32 v1, v9, v3, v0
	v_fmac_f32_e32 v5, v2, v9
	v_fmac_f32_e32 v6, v8, v2
	v_fma_f32 v0, -v2, v9, v10
	v_fmac_f32_e32 v1, v8, v2
	v_mov_b32_e32 v2, v40
	v_mov_b32_e32 v3, v41
	ds_write_b64 v4, v[5:6] offset:6720
.LBB0_15:
	s_andn2_saveexec_b32 s0, s5
	s_cbranch_execz .LBB0_17
; %bb.16:
	v_mov_b32_e32 v7, 0
	ds_read_b64 v[2:3], v7 offset:3360
	s_waitcnt lgkmcnt(0)
	v_add_f32_e32 v5, v2, v2
	v_mul_f32_e32 v6, -2.0, v3
	v_mov_b32_e32 v2, 0
	v_mov_b32_e32 v3, 0
	ds_write_b64 v7, v[5:6] offset:3360
.LBB0_17:
	s_or_b32 exec_lo, exec_lo, s0
	v_lshlrev_b64 v[2:3], 3, v[2:3]
	v_add_co_u32 v2, s0, s1, v2
	v_add_co_ci_u32_e64 v3, s0, s4, v3, s0
	s_clause 0x3
	global_load_dwordx2 v[5:6], v[2:3], off offset:448
	global_load_dwordx2 v[7:8], v[2:3], off offset:896
	;; [unrolled: 1-line block ×4, first 2 shown]
	v_add_co_u32 v2, s0, 0x800, v2
	v_add_co_ci_u32_e64 v3, s0, 0, v3, s0
	v_cmp_gt_u32_e64 s0, 28, v40
	s_clause 0x1
	global_load_dwordx2 v[13:14], v[2:3], off offset:192
	global_load_dwordx2 v[15:16], v[2:3], off offset:640
	ds_write_b64 v48, v[0:1]
	ds_read_b64 v[0:1], v48 offset:448
	ds_read_b64 v[17:18], v4 offset:6272
	s_waitcnt lgkmcnt(0)
	v_add_f32_e32 v19, v0, v17
	v_add_f32_e32 v20, v18, v1
	v_sub_f32_e32 v21, v0, v17
	v_sub_f32_e32 v0, v1, v18
	s_waitcnt vmcnt(5)
	v_fma_f32 v22, v21, v6, v19
	v_fma_f32 v1, v20, v6, v0
	v_fma_f32 v17, -v21, v6, v19
	v_fma_f32 v18, v20, v6, -v0
	v_fma_f32 v0, -v5, v20, v22
	v_fmac_f32_e32 v1, v21, v5
	v_fmac_f32_e32 v17, v5, v20
	v_fmac_f32_e32 v18, v21, v5
	ds_write_b64 v48, v[0:1] offset:448
	ds_write_b64 v4, v[17:18] offset:6272
	ds_read_b64 v[0:1], v48 offset:896
	ds_read_b64 v[5:6], v4 offset:5824
	s_waitcnt lgkmcnt(0)
	v_add_f32_e32 v17, v0, v5
	v_add_f32_e32 v18, v6, v1
	v_sub_f32_e32 v19, v0, v5
	v_sub_f32_e32 v0, v1, v6
	s_waitcnt vmcnt(4)
	v_fma_f32 v20, v19, v8, v17
	v_fma_f32 v1, v18, v8, v0
	v_fma_f32 v5, -v19, v8, v17
	v_fma_f32 v6, v18, v8, -v0
	v_fma_f32 v0, -v7, v18, v20
	v_fmac_f32_e32 v1, v19, v7
	v_fmac_f32_e32 v5, v7, v18
	v_fmac_f32_e32 v6, v19, v7
	ds_write_b64 v48, v[0:1] offset:896
	ds_write_b64 v4, v[5:6] offset:5824
	;; [unrolled: 18-line block ×6, first 2 shown]
	s_and_saveexec_b32 s1, s0
	s_cbranch_execz .LBB0_19
; %bb.18:
	global_load_dwordx2 v[0:1], v[2:3], off offset:1088
	ds_read_b64 v[2:3], v48 offset:3136
	ds_read_b64 v[5:6], v4 offset:3584
	s_waitcnt lgkmcnt(0)
	v_add_f32_e32 v7, v2, v5
	v_add_f32_e32 v8, v6, v3
	v_sub_f32_e32 v9, v2, v5
	v_sub_f32_e32 v3, v3, v6
	s_waitcnt vmcnt(0)
	v_fma_f32 v10, v9, v1, v7
	v_fma_f32 v2, v8, v1, v3
	v_fma_f32 v5, -v9, v1, v7
	v_fma_f32 v6, v8, v1, -v3
	v_fma_f32 v1, -v0, v8, v10
	v_fmac_f32_e32 v2, v9, v0
	v_fmac_f32_e32 v5, v0, v8
	;; [unrolled: 1-line block ×3, first 2 shown]
	ds_write_b64 v48, v[1:2] offset:3136
	ds_write_b64 v4, v[5:6] offset:3584
.LBB0_19:
	s_or_b32 exec_lo, exec_lo, s1
	v_add_nc_u32_e32 v0, 0x800, v48
	v_add_nc_u32_e32 v24, 0x1000, v48
	s_waitcnt lgkmcnt(0)
	s_barrier
	buffer_gl0_inv
	s_barrier
	buffer_gl0_inv
	ds_read2_b64 v[1:4], v48 offset1:56
	v_add_nc_u32_e32 v12, 0x400, v48
	v_add_nc_u32_e32 v9, 0x1400, v48
	ds_read2_b64 v[5:8], v0 offset0:164 offset1:220
	ds_read2_b64 v[13:16], v48 offset0:112 offset1:168
	;; [unrolled: 1-line block ×7, first 2 shown]
	v_add_nc_u32_e32 v32, 56, v40
	v_add_nc_u32_e32 v41, 0x70, v40
	v_lshl_add_u32 v11, v40, 3, v48
	v_add_nc_u32_e32 v34, 0xa8, v40
	v_add_nc_u32_e32 v33, 0xe0, v40
	v_lshl_add_u32 v23, v32, 4, 0
	v_add_nc_u32_e32 v35, 0x118, v40
	v_add_nc_u32_e32 v46, 0x150, v40
	v_add_nc_u32_e32 v45, 0x188, v40
	s_waitcnt lgkmcnt(0)
	s_barrier
	buffer_gl0_inv
	v_sub_f32_e32 v5, v1, v5
	v_sub_f32_e32 v6, v2, v6
	v_sub_f32_e32 v7, v3, v7
	v_sub_f32_e32 v8, v4, v8
	v_sub_f32_e32 v9, v13, v17
	v_fma_f32 v1, v1, 2.0, -v5
	v_fma_f32 v2, v2, 2.0, -v6
	v_sub_f32_e32 v10, v14, v18
	v_sub_f32_e32 v22, v28, v39
	;; [unrolled: 1-line block ×4, first 2 shown]
	v_fma_f32 v3, v3, 2.0, -v7
	v_fma_f32 v4, v4, 2.0, -v8
	v_sub_f32_e32 v17, v15, v19
	v_sub_f32_e32 v18, v16, v20
	;; [unrolled: 1-line block ×7, first 2 shown]
	v_fma_f32 v13, v13, 2.0, -v9
	v_fma_f32 v14, v14, 2.0, -v10
	;; [unrolled: 1-line block ×5, first 2 shown]
	ds_write2_b64 v11, v[1:2], v[5:6] offset1:1
	ds_write2_b64 v23, v[3:4], v[7:8] offset1:1
	v_lshl_add_u32 v1, v41, 4, 0
	v_fma_f32 v15, v15, 2.0, -v17
	v_fma_f32 v16, v16, 2.0, -v18
	v_lshl_add_u32 v2, v34, 4, 0
	v_fma_f32 v25, v25, 2.0, -v19
	v_fma_f32 v26, v26, 2.0, -v20
	v_lshl_add_u32 v3, v33, 4, 0
	v_fma_f32 v36, v27, 2.0, -v21
	v_lshl_add_u32 v4, v35, 4, 0
	v_fma_f32 v49, v49, 2.0, -v38
	v_fma_f32 v50, v50, 2.0, -v39
	v_lshl_add_u32 v5, v46, 4, 0
	ds_write2_b64 v1, v[13:14], v[9:10] offset1:1
	ds_write2_b64 v2, v[15:16], v[17:18] offset1:1
	;; [unrolled: 1-line block ×5, first 2 shown]
	s_and_saveexec_b32 s1, s0
	s_cbranch_execz .LBB0_21
; %bb.20:
	v_lshl_add_u32 v1, v45, 4, 0
	ds_write2_b64 v1, v[28:29], v[30:31] offset1:1
.LBB0_21:
	s_or_b32 exec_lo, exec_lo, s1
	v_add_nc_u32_e32 v8, 0xc00, v48
	s_waitcnt lgkmcnt(0)
	s_barrier
	buffer_gl0_inv
	ds_read2_b64 v[4:7], v48 offset1:56
	ds_read2_b64 v[0:3], v0 offset0:80 offset1:164
	ds_read2_b64 v[16:19], v8 offset0:92 offset1:148
	;; [unrolled: 1-line block ×6, first 2 shown]
	v_lshlrev_b32_e32 v44, 1, v32
	v_lshlrev_b32_e32 v39, 1, v41
	;; [unrolled: 1-line block ×6, first 2 shown]
	s_and_saveexec_b32 s1, s0
	s_cbranch_execz .LBB0_23
; %bb.22:
	ds_read_b64 v[28:29], v48 offset:3136
	ds_read_b64 v[30:31], v48 offset:6496
.LBB0_23:
	s_or_b32 exec_lo, exec_lo, s1
	v_and_b32_e32 v47, 1, v40
	v_lshlrev_b32_e32 v45, 1, v45
	v_lshlrev_b32_e32 v46, 3, v47
	v_and_or_b32 v52, 0xfc, v44, v47
	v_and_or_b32 v53, 0x1fc, v39, v47
	;; [unrolled: 1-line block ×4, first 2 shown]
	global_load_dwordx2 v[49:50], v46, s[8:9]
	v_lshlrev_b32_e32 v46, 1, v40
	v_and_or_b32 v56, 0x2fc, v36, v47
	v_and_or_b32 v57, 0x3fc, v35, v47
	v_lshl_add_u32 v52, v52, 3, 0
	v_lshl_add_u32 v53, v53, 3, 0
	v_and_or_b32 v51, 0x7c, v46, v47
	v_lshl_add_u32 v54, v54, 3, 0
	v_lshl_add_u32 v55, v55, 3, 0
	s_waitcnt vmcnt(0) lgkmcnt(0)
	s_barrier
	v_lshl_add_u32 v51, v51, 3, 0
	buffer_gl0_inv
	v_lshl_add_u32 v56, v56, 3, 0
	v_lshl_add_u32 v57, v57, 3, 0
	v_mul_f32_e32 v58, v50, v3
	v_mul_f32_e32 v59, v50, v2
	;; [unrolled: 1-line block ×16, first 2 shown]
	v_fma_f32 v2, v49, v2, -v58
	v_fmac_f32_e32 v59, v49, v3
	v_fma_f32 v16, v49, v16, -v60
	v_fma_f32 v30, v30, v49, -v72
	v_fmac_f32_e32 v50, v31, v49
	v_fmac_f32_e32 v61, v49, v17
	v_fma_f32 v18, v49, v18, -v62
	v_fmac_f32_e32 v63, v49, v19
	v_fma_f32 v20, v49, v20, -v64
	;; [unrolled: 2-line block ×5, first 2 shown]
	v_fmac_f32_e32 v71, v49, v27
	v_sub_f32_e32 v2, v4, v2
	v_sub_f32_e32 v3, v5, v59
	;; [unrolled: 1-line block ×16, first 2 shown]
	v_fma_f32 v4, v4, 2.0, -v2
	v_fma_f32 v5, v5, 2.0, -v3
	;; [unrolled: 1-line block ×16, first 2 shown]
	ds_write2_b64 v51, v[4:5], v[2:3] offset1:2
	ds_write2_b64 v52, v[6:7], v[16:17] offset1:2
	;; [unrolled: 1-line block ×7, first 2 shown]
	s_and_saveexec_b32 s1, s0
	s_cbranch_execz .LBB0_25
; %bb.24:
	v_and_or_b32 v0, 0x37c, v45, v47
	v_lshl_add_u32 v0, v0, 3, 0
	ds_write2_b64 v0, v[28:29], v[30:31] offset1:2
.LBB0_25:
	s_or_b32 exec_lo, exec_lo, s1
	v_add_nc_u32_e32 v0, 0x800, v48
	v_add_nc_u32_e32 v8, 0xc00, v48
	;; [unrolled: 1-line block ×4, first 2 shown]
	s_waitcnt lgkmcnt(0)
	s_barrier
	buffer_gl0_inv
	ds_read2_b64 v[4:7], v48 offset1:56
	ds_read2_b64 v[0:3], v0 offset0:80 offset1:164
	ds_read2_b64 v[24:27], v8 offset0:92 offset1:148
	;; [unrolled: 1-line block ×6, first 2 shown]
	s_and_saveexec_b32 s1, s0
	s_cbranch_execz .LBB0_27
; %bb.26:
	ds_read_b64 v[28:29], v48 offset:3136
	ds_read_b64 v[30:31], v48 offset:6496
.LBB0_27:
	s_or_b32 exec_lo, exec_lo, s1
	v_and_b32_e32 v47, 3, v40
	v_lshlrev_b32_e32 v49, 3, v47
	v_and_or_b32 v46, 0x78, v46, v47
	v_and_or_b32 v44, 0xf8, v44, v47
	;; [unrolled: 1-line block ×4, first 2 shown]
	global_load_dwordx2 v[49:50], v49, s[8:9] offset:16
	v_and_or_b32 v37, 0x3f8, v37, v47
	v_and_or_b32 v36, 0x2f8, v36, v47
	;; [unrolled: 1-line block ×3, first 2 shown]
	v_lshl_add_u32 v46, v46, 3, 0
	v_lshl_add_u32 v44, v44, 3, 0
	;; [unrolled: 1-line block ×5, first 2 shown]
	s_waitcnt vmcnt(0) lgkmcnt(0)
	s_barrier
	buffer_gl0_inv
	v_lshl_add_u32 v36, v36, 3, 0
	v_lshl_add_u32 v35, v35, 3, 0
	v_mul_f32_e32 v51, v50, v3
	v_mul_f32_e32 v52, v50, v2
	;; [unrolled: 1-line block ×16, first 2 shown]
	v_fma_f32 v2, v49, v2, -v51
	v_fmac_f32_e32 v52, v49, v3
	v_fma_f32 v3, v49, v24, -v53
	v_fmac_f32_e32 v54, v49, v25
	;; [unrolled: 2-line block ×8, first 2 shown]
	v_sub_f32_e32 v16, v4, v2
	v_sub_f32_e32 v17, v5, v52
	v_sub_f32_e32 v18, v6, v3
	v_sub_f32_e32 v19, v7, v54
	v_sub_f32_e32 v20, v12, v24
	v_sub_f32_e32 v21, v13, v56
	v_sub_f32_e32 v22, v14, v25
	v_sub_f32_e32 v23, v15, v58
	v_sub_f32_e32 v24, v8, v26
	v_sub_f32_e32 v25, v9, v60
	v_sub_f32_e32 v26, v10, v27
	v_sub_f32_e32 v27, v11, v62
	v_sub_f32_e32 v30, v0, v51
	v_sub_f32_e32 v31, v1, v64
	v_sub_f32_e32 v2, v28, v53
	v_sub_f32_e32 v3, v29, v50
	v_fma_f32 v4, v4, 2.0, -v16
	v_fma_f32 v5, v5, 2.0, -v17
	;; [unrolled: 1-line block ×14, first 2 shown]
	ds_write2_b64 v46, v[4:5], v[16:17] offset1:4
	ds_write2_b64 v44, v[6:7], v[18:19] offset1:4
	;; [unrolled: 1-line block ×7, first 2 shown]
	s_and_saveexec_b32 s1, s0
	s_cbranch_execz .LBB0_29
; %bb.28:
	v_and_or_b32 v0, 0x378, v45, v47
	v_fma_f32 v1, v29, 2.0, -v3
	v_lshl_add_u32 v4, v0, 3, 0
	v_fma_f32 v0, v28, 2.0, -v2
	ds_write2_b64 v4, v[0:1], v[2:3] offset1:4
.LBB0_29:
	s_or_b32 exec_lo, exec_lo, s1
	v_and_b32_e32 v37, 7, v40
	s_waitcnt lgkmcnt(0)
	s_barrier
	buffer_gl0_inv
	v_add_nc_u32_e32 v50, 0x400, v48
	v_lshlrev_b32_e32 v0, 4, v37
	v_add_nc_u32_e32 v46, 0x1000, v48
	v_add_nc_u32_e32 v49, 0x800, v48
	v_lshrrev_b32_e32 v38, 3, v40
	v_lshrrev_b32_e32 v39, 3, v32
	global_load_dwordx4 v[12:15], v0, s[8:9] offset:48
	v_lshrrev_b32_e32 v44, 3, v41
	v_lshrrev_b32_e32 v45, 3, v34
	;; [unrolled: 1-line block ×3, first 2 shown]
	v_and_b32_e32 v51, 0xff, v40
	v_and_b32_e32 v53, 0xff, v32
	ds_read2_b64 v[4:7], v48 offset1:56
	ds_read2_b64 v[8:11], v48 offset0:112 offset1:168
	ds_read_b64 v[0:1], v48 offset:6272
	ds_read2_b64 v[16:19], v50 offset0:96 offset1:152
	ds_read2_b64 v[20:23], v46 offset0:48 offset1:104
	ds_read2_b64 v[24:27], v49 offset0:80 offset1:136
	ds_read2_b64 v[28:31], v46 offset0:160 offset1:216
	ds_read2_b64 v[33:36], v49 offset0:192 offset1:248
	v_and_b32_e32 v54, 0xff, v41
	v_mul_u32_u24_e32 v38, 24, v38
	v_mul_u32_u24_e32 v39, 24, v39
	;; [unrolled: 1-line block ×5, first 2 shown]
	v_mul_lo_u16 v51, 0xab, v51
	v_mul_lo_u16 v53, 0xab, v53
	;; [unrolled: 1-line block ×3, first 2 shown]
	v_or_b32_e32 v38, v38, v37
	v_or_b32_e32 v39, v39, v37
	v_lshrrev_b16 v55, 12, v51
	v_or_b32_e32 v44, v44, v37
	v_or_b32_e32 v45, v45, v37
	;; [unrolled: 1-line block ×3, first 2 shown]
	v_lshrrev_b16 v47, 12, v53
	v_mul_lo_u16 v51, v55, 24
	v_lshrrev_b16 v53, 12, v54
	v_lshl_add_u32 v38, v38, 3, 0
	v_lshl_add_u32 v39, v39, 3, 0
	v_mul_lo_u16 v54, v47, 24
	v_sub_nc_u16 v56, v40, v51
	v_mov_b32_e32 v52, 5
	v_lshl_add_u32 v44, v44, 3, 0
	s_waitcnt vmcnt(0) lgkmcnt(0)
	v_sub_nc_u16 v57, v32, v54
	s_barrier
	buffer_gl0_inv
	v_lshl_add_u32 v45, v45, 3, 0
	v_lshl_add_u32 v37, v37, 3, 0
	v_lshlrev_b32_sdwa v32, v52, v56 dst_sel:DWORD dst_unused:UNUSED_PAD src0_sel:DWORD src1_sel:BYTE_0
	v_cmp_gt_u32_e64 s0, 8, v40
	v_mul_f32_e32 v51, v13, v19
	v_mul_f32_e32 v54, v13, v18
	;; [unrolled: 1-line block ×20, first 2 shown]
	v_fma_f32 v15, v14, v20, -v58
	v_fmac_f32_e32 v59, v14, v21
	v_fma_f32 v18, v12, v18, -v51
	v_fmac_f32_e32 v54, v12, v19
	;; [unrolled: 2-line block ×10, first 2 shown]
	v_add_f32_e32 v12, v18, v15
	v_add_f32_e32 v14, v54, v59
	;; [unrolled: 1-line block ×4, first 2 shown]
	v_sub_f32_e32 v27, v54, v59
	v_add_f32_e32 v1, v5, v54
	v_add_f32_e32 v35, v21, v22
	;; [unrolled: 1-line block ×4, first 2 shown]
	v_sub_f32_e32 v28, v18, v15
	v_add_f32_e32 v18, v6, v19
	v_sub_f32_e32 v34, v19, v20
	v_add_f32_e32 v19, v8, v21
	;; [unrolled: 2-line block ×4, first 2 shown]
	v_add_f32_e32 v60, v23, v24
	v_add_f32_e32 v64, v69, v71
	v_sub_f32_e32 v65, v23, v24
	v_add_f32_e32 v23, v16, v25
	v_add_f32_e32 v66, v25, v26
	;; [unrolled: 1-line block ×3, first 2 shown]
	v_fma_f32 v4, -0.5, v12, v4
	v_fma_f32 v5, -0.5, v14, v5
	v_sub_f32_e32 v30, v61, v63
	v_add_f32_e32 v31, v7, v61
	v_fma_f32 v6, -0.5, v29, v6
	v_fmac_f32_e32 v7, -0.5, v33
	v_fma_f32 v8, -0.5, v35, v8
	v_fma_f32 v9, -0.5, v54, v9
	v_sub_f32_e32 v61, v69, v71
	v_add_f32_e32 v62, v11, v69
	v_sub_f32_e32 v68, v13, v74
	v_add_f32_e32 v69, v17, v13
	;; [unrolled: 2-line block ×3, first 2 shown]
	v_add_f32_e32 v1, v1, v59
	v_add_f32_e32 v12, v18, v20
	;; [unrolled: 1-line block ×3, first 2 shown]
	v_fma_f32 v10, -0.5, v60, v10
	v_fmac_f32_e32 v11, -0.5, v64
	v_add_f32_e32 v20, v23, v26
	v_fma_f32 v16, -0.5, v66, v16
	v_fmac_f32_e32 v17, -0.5, v70
	v_fmamk_f32 v22, v27, 0x3f5db3d7, v4
	v_fmamk_f32 v23, v28, 0xbf5db3d7, v5
	v_fmac_f32_e32 v4, 0xbf5db3d7, v27
	v_fmac_f32_e32 v5, 0x3f5db3d7, v28
	v_add_f32_e32 v13, v31, v63
	v_add_f32_e32 v18, v21, v24
	v_fmamk_f32 v24, v30, 0x3f5db3d7, v6
	v_fmamk_f32 v25, v34, 0xbf5db3d7, v7
	v_fmac_f32_e32 v6, 0xbf5db3d7, v30
	v_fmac_f32_e32 v7, 0x3f5db3d7, v34
	v_add_f32_e32 v15, v51, v67
	v_fmamk_f32 v26, v36, 0x3f5db3d7, v8
	v_fmamk_f32 v27, v58, 0xbf5db3d7, v9
	v_add_f32_e32 v19, v62, v71
	v_add_f32_e32 v21, v69, v74
	v_fmac_f32_e32 v8, 0xbf5db3d7, v36
	v_fmac_f32_e32 v9, 0x3f5db3d7, v58
	v_fmamk_f32 v28, v61, 0x3f5db3d7, v10
	v_fmac_f32_e32 v10, 0xbf5db3d7, v61
	v_fmamk_f32 v29, v65, 0xbf5db3d7, v11
	;; [unrolled: 2-line block ×4, first 2 shown]
	v_fmac_f32_e32 v17, 0x3f5db3d7, v72
	ds_write2_b64 v38, v[0:1], v[22:23] offset1:8
	ds_write_b64 v38, v[4:5] offset:128
	ds_write2_b64 v39, v[12:13], v[24:25] offset1:8
	ds_write_b64 v39, v[6:7] offset:128
	;; [unrolled: 2-line block ×5, first 2 shown]
	v_mul_lo_u16 v0, v53, 24
	v_lshlrev_b32_sdwa v1, v52, v57 dst_sel:DWORD dst_unused:UNUSED_PAD src0_sel:DWORD src1_sel:BYTE_0
	s_waitcnt lgkmcnt(0)
	s_barrier
	buffer_gl0_inv
	v_sub_nc_u16 v44, v41, v0
	s_clause 0x2
	global_load_dwordx4 v[4:7], v32, s[8:9] offset:176
	global_load_dwordx4 v[12:15], v1, s[8:9] offset:176
	global_load_dwordx4 v[8:11], v32, s[8:9] offset:192
	v_mov_b32_e32 v45, 3
	v_lshlrev_b32_sdwa v0, v52, v44 dst_sel:DWORD dst_unused:UNUSED_PAD src0_sel:DWORD src1_sel:BYTE_0
	s_clause 0x2
	global_load_dwordx4 v[16:19], v1, s[8:9] offset:192
	global_load_dwordx4 v[20:23], v0, s[8:9] offset:176
	;; [unrolled: 1-line block ×3, first 2 shown]
	v_mov_b32_e32 v0, 0x3c0
	v_add_nc_u32_e32 v52, 0xc00, v48
	v_add_nc_u32_e32 v51, 0x1400, v48
	ds_read2_b64 v[28:31], v48 offset0:112 offset1:168
	ds_read2_b64 v[32:35], v49 offset0:24 offset1:80
	v_mul_u32_u24_sdwa v61, v55, v0 dst_sel:DWORD dst_unused:UNUSED_PAD src0_sel:WORD_0 src1_sel:DWORD
	v_mul_u32_u24_sdwa v47, v47, v0 dst_sel:DWORD dst_unused:UNUSED_PAD src0_sel:WORD_0 src1_sel:DWORD
	;; [unrolled: 1-line block ×3, first 2 shown]
	ds_read2_b64 v[36:39], v52 offset0:120 offset1:176
	v_lshlrev_b32_sdwa v62, v45, v56 dst_sel:DWORD dst_unused:UNUSED_PAD src0_sel:DWORD src1_sel:BYTE_0
	ds_read2_b64 v[53:56], v46 offset0:104 offset1:160
	v_lshlrev_b32_sdwa v63, v45, v57 dst_sel:DWORD dst_unused:UNUSED_PAD src0_sel:DWORD src1_sel:BYTE_0
	ds_read2_b32 v[0:1], v50 offset0:192 offset1:193
	ds_read2_b64 v[57:60], v49 offset0:136 offset1:192
	v_lshlrev_b32_sdwa v44, v45, v44 dst_sel:DWORD dst_unused:UNUSED_PAD src0_sel:DWORD src1_sel:BYTE_0
	v_add3_u32 v45, 0, v61, v62
	v_add3_u32 v47, 0, v47, v63
	ds_read2_b64 v[61:64], v51 offset0:88 offset1:144
	v_add3_u32 v44, 0, v65, v44
	ds_read2_b64 v[65:68], v48 offset1:56
	s_waitcnt vmcnt(0) lgkmcnt(0)
	s_barrier
	buffer_gl0_inv
	v_mul_f32_e32 v69, v5, v31
	v_mul_f32_e32 v5, v5, v30
	;; [unrolled: 1-line block ×22, first 2 shown]
	v_fma_f32 v30, v4, v30, -v69
	v_fmac_f32_e32 v5, v4, v31
	v_fma_f32 v4, v6, v34, -v70
	v_fmac_f32_e32 v7, v6, v35
	v_mul_f32_e32 v6, v64, v27
	v_mul_f32_e32 v27, v63, v27
	v_fma_f32 v31, v8, v36, -v71
	v_fma_f32 v34, v10, v55, -v9
	v_fmac_f32_e32 v72, v8, v37
	v_fmac_f32_e32 v73, v10, v56
	v_fma_f32 v0, v12, v0, -v11
	v_fmac_f32_e32 v13, v1, v12
	v_fma_f32 v1, v57, v14, -v74
	;; [unrolled: 2-line block ×8, first 2 shown]
	v_fmac_f32_e32 v27, v64, v26
	v_sub_f32_e32 v11, v30, v4
	v_sub_f32_e32 v12, v34, v31
	v_add_f32_e32 v6, v65, v30
	v_add_f32_e32 v9, v4, v31
	;; [unrolled: 1-line block ×4, first 2 shown]
	v_sub_f32_e32 v19, v4, v30
	v_sub_f32_e32 v20, v31, v34
	v_add_f32_e32 v26, v66, v5
	v_add_f32_e32 v39, v5, v73
	;; [unrolled: 1-line block ×6, first 2 shown]
	v_sub_f32_e32 v37, v5, v7
	v_sub_f32_e32 v38, v73, v72
	;; [unrolled: 1-line block ×5, first 2 shown]
	v_add_f32_e32 v61, v0, v35
	v_sub_f32_e32 v62, v1, v0
	v_sub_f32_e32 v70, v0, v35
	;; [unrolled: 1-line block ×4, first 2 shown]
	v_add_f32_e32 v75, v13, v77
	v_add_f32_e32 v78, v28, v8
	;; [unrolled: 1-line block ×8, first 2 shown]
	v_sub_f32_e32 v22, v5, v73
	v_sub_f32_e32 v30, v30, v34
	;; [unrolled: 1-line block ×3, first 2 shown]
	v_add_f32_e32 v91, v6, v4
	v_fma_f32 v4, -0.5, v9, v65
	v_fma_f32 v5, -0.5, v33, v66
	v_sub_f32_e32 v24, v7, v72
	v_sub_f32_e32 v57, v13, v77
	;; [unrolled: 1-line block ×5, first 2 shown]
	v_add_f32_e32 v94, v19, v20
	v_sub_f32_e32 v19, v25, v27
	v_add_f32_e32 v20, v26, v7
	v_fma_f32 v6, -0.5, v16, v65
	v_fma_f32 v7, -0.5, v39, v66
	v_sub_f32_e32 v58, v15, v17
	v_sub_f32_e32 v63, v14, v35
	;; [unrolled: 1-line block ×5, first 2 shown]
	v_add_f32_e32 v16, v55, v1
	v_fma_f32 v8, -0.5, v56, v67
	v_add_f32_e32 v15, v64, v15
	v_fma_f32 v9, -0.5, v69, v68
	v_sub_f32_e32 v71, v1, v14
	v_sub_f32_e32 v80, v21, v27
	;; [unrolled: 1-line block ×5, first 2 shown]
	v_add_f32_e32 v37, v37, v38
	v_add_f32_e32 v38, v53, v54
	v_fma_f32 v67, -0.5, v61, v67
	v_add_f32_e32 v54, v0, v74
	v_fmac_f32_e32 v68, -0.5, v75
	v_fma_f32 v0, -0.5, v79, v28
	v_fma_f32 v28, -0.5, v84, v28
	v_add_f32_e32 v21, v87, v23
	v_add_f32_e32 v23, v78, v10
	v_fma_f32 v1, -0.5, v88, v29
	v_fmac_f32_e32 v29, -0.5, v11
	v_fmamk_f32 v10, v22, 0x3f737871, v4
	v_fmamk_f32 v11, v30, 0xbf737871, v5
	v_add_f32_e32 v55, v13, v76
	v_add_f32_e32 v61, v12, v19
	v_fmamk_f32 v12, v24, 0xbf737871, v6
	v_fmac_f32_e32 v6, 0x3f737871, v24
	v_fmamk_f32 v13, v36, 0x3f737871, v7
	v_fmac_f32_e32 v7, 0xbf737871, v36
	v_fmac_f32_e32 v4, 0xbf737871, v22
	;; [unrolled: 1-line block ×3, first 2 shown]
	v_sub_f32_e32 v60, v35, v14
	v_add_f32_e32 v53, v62, v63
	v_add_f32_e32 v62, v16, v14
	v_fmamk_f32 v14, v57, 0x3f737871, v8
	v_add_f32_e32 v63, v15, v17
	v_fmamk_f32 v15, v70, 0xbf737871, v9
	v_sub_f32_e32 v83, v32, v18
	v_sub_f32_e32 v86, v18, v32
	;; [unrolled: 1-line block ×3, first 2 shown]
	v_add_f32_e32 v26, v91, v31
	v_add_f32_e32 v31, v20, v72
	v_fmamk_f32 v16, v58, 0xbf737871, v67
	v_fmac_f32_e32 v67, 0x3f737871, v58
	v_fmamk_f32 v17, v71, 0x3f737871, v68
	v_fmac_f32_e32 v68, 0xbf737871, v71
	v_add_f32_e32 v64, v23, v18
	v_add_f32_e32 v65, v21, v25
	v_fmamk_f32 v18, v80, 0x3f737871, v0
	v_fmamk_f32 v20, v81, 0xbf737871, v28
	v_fmac_f32_e32 v28, 0x3f737871, v81
	v_fmamk_f32 v19, v89, 0xbf737871, v1
	v_fmamk_f32 v21, v33, 0x3f737871, v29
	v_fmac_f32_e32 v29, 0xbf737871, v33
	v_fmac_f32_e32 v8, 0xbf737871, v57
	;; [unrolled: 1-line block ×13, first 2 shown]
	v_add_f32_e32 v39, v59, v60
	v_fmac_f32_e32 v14, 0x3f167918, v58
	v_fmac_f32_e32 v15, 0xbf167918, v71
	v_add_f32_e32 v56, v82, v83
	v_add_f32_e32 v59, v85, v86
	;; [unrolled: 1-line block ×3, first 2 shown]
	v_fmac_f32_e32 v16, 0x3f167918, v57
	v_fmac_f32_e32 v67, 0xbf167918, v57
	;; [unrolled: 1-line block ×10, first 2 shown]
	v_add_f32_e32 v22, v26, v34
	v_add_f32_e32 v23, v31, v73
	v_fmac_f32_e32 v8, 0xbf167918, v58
	v_fmac_f32_e32 v9, 0x3f167918, v71
	;; [unrolled: 1-line block ×12, first 2 shown]
	v_add_f32_e32 v24, v62, v35
	v_add_f32_e32 v25, v63, v77
	v_fmac_f32_e32 v14, 0x3e9e377a, v39
	v_fmac_f32_e32 v15, 0x3e9e377a, v54
	v_add_f32_e32 v26, v64, v32
	v_add_f32_e32 v27, v65, v27
	v_fmac_f32_e32 v16, 0x3e9e377a, v53
	v_fmac_f32_e32 v67, 0x3e9e377a, v53
	;; [unrolled: 1-line block ×14, first 2 shown]
	ds_write2_b64 v45, v[22:23], v[10:11] offset1:24
	ds_write2_b64 v45, v[12:13], v[6:7] offset0:48 offset1:72
	ds_write_b64 v45, v[4:5] offset:768
	ds_write2_b64 v47, v[24:25], v[14:15] offset1:24
	ds_write2_b64 v47, v[16:17], v[67:68] offset0:48 offset1:72
	ds_write_b64 v47, v[8:9] offset:768
	;; [unrolled: 3-line block ×3, first 2 shown]
	s_waitcnt lgkmcnt(0)
	s_barrier
	buffer_gl0_inv
	ds_read2_b64 v[12:15], v48 offset1:56
	ds_read2_b64 v[32:35], v48 offset0:120 offset1:176
	ds_read2_b64 v[36:39], v50 offset0:112 offset1:168
	;; [unrolled: 1-line block ×6, first 2 shown]
                                        ; implicit-def: $vgpr5
                                        ; implicit-def: $vgpr9
                                        ; implicit-def: $vgpr45
	s_and_saveexec_b32 s1, s0
	s_cbranch_execz .LBB0_31
; %bb.30:
	ds_read2_b64 v[0:3], v48 offset0:112 offset1:232
	ds_read2_b64 v[4:7], v49 offset0:96 offset1:216
	;; [unrolled: 1-line block ×3, first 2 shown]
	ds_read_b64 v[44:45], v48 offset:6656
.LBB0_31:
	s_or_b32 exec_lo, exec_lo, s1
	v_mul_u32_u24_e32 v47, 6, v40
	v_lshlrev_b32_e32 v47, 3, v47
	s_clause 0x2
	global_load_dwordx4 v[53:56], v47, s[8:9] offset:944
	global_load_dwordx4 v[57:60], v47, s[8:9] offset:960
	;; [unrolled: 1-line block ×3, first 2 shown]
	v_add_co_u32 v47, s1, s8, v47
	v_add_co_ci_u32_e64 v67, null, s9, 0, s1
	v_add_co_u32 v65, s1, 0x800, v47
	v_add_co_ci_u32_e64 v66, s1, 0, v67, s1
	v_add_co_u32 v73, s1, 0xe30, v47
	v_add_co_ci_u32_e64 v74, s1, 0, v67, s1
	s_clause 0x2
	global_load_dwordx4 v[65:68], v[65:66], off offset:1584
	global_load_dwordx4 v[69:72], v[73:74], off offset:16
	;; [unrolled: 1-line block ×3, first 2 shown]
	v_mov_b32_e32 v47, 0
	s_waitcnt vmcnt(0) lgkmcnt(0)
	s_barrier
	buffer_gl0_inv
	v_mul_f32_e32 v77, v54, v33
	v_mul_f32_e32 v54, v54, v32
	;; [unrolled: 1-line block ×12, first 2 shown]
	v_fma_f32 v32, v53, v32, -v77
	v_fmac_f32_e32 v54, v53, v33
	v_fma_f32 v33, v55, v36, -v78
	v_fmac_f32_e32 v56, v55, v37
	;; [unrolled: 2-line block ×3, first 2 shown]
	v_fma_f32 v16, v59, v16, -v80
	v_fma_f32 v24, v63, v24, -v82
	v_fmac_f32_e32 v64, v63, v25
	v_fmac_f32_e32 v60, v59, v17
	v_fma_f32 v17, v61, v20, -v81
	v_fmac_f32_e32 v62, v61, v21
	v_add_f32_e32 v20, v32, v24
	v_add_f32_e32 v21, v54, v64
	v_sub_f32_e32 v24, v32, v24
	v_sub_f32_e32 v25, v54, v64
	v_add_f32_e32 v29, v33, v17
	v_add_f32_e32 v32, v56, v62
	v_sub_f32_e32 v17, v33, v17
	v_sub_f32_e32 v33, v56, v62
	;; [unrolled: 4-line block ×3, first 2 shown]
	v_mul_f32_e32 v53, v66, v35
	v_mul_f32_e32 v54, v66, v34
	;; [unrolled: 1-line block ×12, first 2 shown]
	v_fma_f32 v34, v65, v34, -v53
	v_fmac_f32_e32 v54, v65, v35
	v_fma_f32 v35, v67, v38, -v55
	v_fmac_f32_e32 v56, v67, v39
	v_add_f32_e32 v38, v29, v20
	v_add_f32_e32 v39, v32, v21
	v_sub_f32_e32 v53, v29, v20
	v_sub_f32_e32 v55, v32, v21
	;; [unrolled: 1-line block ×6, first 2 shown]
	v_add_f32_e32 v65, v16, v17
	v_sub_f32_e32 v67, v16, v17
	v_fmac_f32_e32 v58, v31, v69
	v_sub_f32_e32 v31, v28, v33
	v_sub_f32_e32 v17, v17, v24
	v_fmac_f32_e32 v60, v19, v71
	v_fma_f32 v19, v22, v73, -v61
	v_fmac_f32_e32 v62, v23, v73
	v_fma_f32 v22, v26, v75, -v63
	v_fmac_f32_e32 v64, v27, v75
	v_add_f32_e32 v66, v28, v33
	v_fma_f32 v30, v30, v69, -v57
	v_sub_f32_e32 v16, v24, v16
	v_sub_f32_e32 v28, v25, v28
	;; [unrolled: 1-line block ×3, first 2 shown]
	v_fma_f32 v18, v18, v71, -v59
	v_add_f32_e32 v23, v36, v38
	v_add_f32_e32 v26, v37, v39
	v_mul_f32_e32 v20, 0x3f4a47b2, v20
	v_mul_f32_e32 v21, 0x3f4a47b2, v21
	;; [unrolled: 1-line block ×7, first 2 shown]
	v_add_f32_e32 v57, v34, v22
	v_add_f32_e32 v59, v54, v64
	v_sub_f32_e32 v22, v34, v22
	v_sub_f32_e32 v34, v54, v64
	v_add_f32_e32 v54, v35, v19
	v_add_f32_e32 v61, v56, v62
	v_mul_f32_e32 v39, 0x3f5ff5aa, v33
	v_sub_f32_e32 v19, v35, v19
	v_sub_f32_e32 v35, v56, v62
	v_add_f32_e32 v56, v30, v18
	v_add_f32_e32 v62, v58, v60
	v_sub_f32_e32 v18, v18, v30
	v_sub_f32_e32 v30, v60, v58
	v_add_f32_e32 v12, v23, v12
	v_add_f32_e32 v13, v26, v13
	v_fmamk_f32 v29, v29, 0x3d64c772, v20
	v_fmamk_f32 v32, v32, 0x3d64c772, v21
	v_fma_f32 v27, 0x3f3bfb3b, v53, -v27
	v_fma_f32 v36, 0x3f3bfb3b, v55, -v36
	;; [unrolled: 1-line block ×4, first 2 shown]
	v_fmamk_f32 v53, v16, 0x3eae86e6, v37
	v_fmamk_f32 v55, v28, 0x3eae86e6, v31
	v_fma_f32 v37, 0x3f5ff5aa, v17, -v37
	v_fma_f32 v31, 0x3f5ff5aa, v33, -v31
	;; [unrolled: 1-line block ×3, first 2 shown]
	v_add_f32_e32 v16, v54, v57
	v_add_f32_e32 v17, v61, v59
	;; [unrolled: 1-line block ×4, first 2 shown]
	v_fma_f32 v28, 0xbeae86e6, v28, -v39
	v_sub_f32_e32 v38, v54, v57
	v_sub_f32_e32 v39, v61, v59
	;; [unrolled: 1-line block ×6, first 2 shown]
	v_add_f32_e32 v60, v18, v19
	v_add_f32_e32 v61, v30, v35
	v_sub_f32_e32 v63, v18, v19
	v_sub_f32_e32 v64, v30, v35
	;; [unrolled: 1-line block ×4, first 2 shown]
	v_fmamk_f32 v23, v23, 0xbf955555, v12
	v_fmamk_f32 v26, v26, 0xbf955555, v13
	v_add_f32_e32 v56, v56, v16
	v_add_f32_e32 v62, v62, v17
	v_sub_f32_e32 v18, v22, v18
	v_sub_f32_e32 v30, v34, v30
	v_fmac_f32_e32 v53, 0x3ee1c552, v24
	v_fmac_f32_e32 v55, 0x3ee1c552, v25
	v_fmac_f32_e32 v37, 0x3ee1c552, v24
	v_fmac_f32_e32 v31, 0x3ee1c552, v25
	v_fmac_f32_e32 v33, 0x3ee1c552, v24
	v_fmac_f32_e32 v28, 0x3ee1c552, v25
	v_add_f32_e32 v60, v60, v22
	v_add_f32_e32 v34, v61, v34
	v_mul_f32_e32 v16, 0x3f4a47b2, v57
	v_mul_f32_e32 v17, 0x3f4a47b2, v58
	;; [unrolled: 1-line block ×8, first 2 shown]
	v_add_f32_e32 v29, v29, v23
	v_add_f32_e32 v32, v32, v26
	;; [unrolled: 1-line block ×7, first 2 shown]
	v_fmamk_f32 v54, v54, 0x3d64c772, v16
	v_fmamk_f32 v59, v59, 0x3d64c772, v17
	v_fma_f32 v64, 0x3f3bfb3b, v38, -v22
	v_fma_f32 v65, 0x3f3bfb3b, v39, -v24
	;; [unrolled: 1-line block ×3, first 2 shown]
	v_fmamk_f32 v66, v18, 0x3eae86e6, v25
	v_fmamk_f32 v67, v30, 0x3eae86e6, v57
	v_fma_f32 v68, 0x3f5ff5aa, v19, -v25
	v_fma_f32 v35, 0x3f5ff5aa, v35, -v57
	;; [unrolled: 1-line block ×4, first 2 shown]
	v_add_f32_e32 v16, v55, v29
	v_add_f32_e32 v18, v28, v63
	v_sub_f32_e32 v19, v26, v33
	v_sub_f32_e32 v24, v63, v28
	v_add_f32_e32 v25, v33, v26
	v_sub_f32_e32 v26, v29, v55
	v_fmamk_f32 v28, v56, 0xbf955555, v14
	v_fmamk_f32 v29, v62, 0xbf955555, v15
	v_add_f32_e32 v27, v27, v23
	v_fma_f32 v39, 0xbf3bfb3b, v39, -v17
	v_add_f32_e32 v21, v37, v36
	v_sub_f32_e32 v23, v36, v37
	v_fmac_f32_e32 v66, 0x3ee1c552, v60
	v_fmac_f32_e32 v67, 0x3ee1c552, v34
	;; [unrolled: 1-line block ×4, first 2 shown]
	v_add_f32_e32 v34, v54, v28
	v_add_f32_e32 v36, v59, v29
	v_sub_f32_e32 v17, v32, v53
	v_sub_f32_e32 v20, v27, v31
	v_add_f32_e32 v22, v31, v27
	v_add_f32_e32 v27, v53, v32
	v_fmac_f32_e32 v57, 0x3ee1c552, v60
	v_add_f32_e32 v32, v38, v28
	v_add_f32_e32 v33, v39, v29
	v_fmac_f32_e32 v68, 0x3ee1c552, v60
	v_add_f32_e32 v30, v64, v28
	v_add_f32_e32 v31, v65, v29
	ds_write2_b64 v48, v[12:13], v[14:15] offset1:56
	v_add_f32_e32 v12, v67, v34
	v_sub_f32_e32 v13, v36, v66
	v_add_f32_e32 v14, v58, v32
	v_sub_f32_e32 v15, v33, v57
	v_sub_f32_e32 v28, v30, v35
	v_add_f32_e32 v29, v68, v31
	v_add_f32_e32 v30, v35, v30
	v_sub_f32_e32 v31, v31, v68
	v_sub_f32_e32 v32, v32, v58
	v_add_f32_e32 v33, v57, v33
	v_sub_f32_e32 v34, v34, v67
	v_add_f32_e32 v35, v66, v36
	ds_write2_b64 v48, v[16:17], v[12:13] offset0:120 offset1:176
	ds_write2_b64 v50, v[18:19], v[14:15] offset0:112 offset1:168
	;; [unrolled: 1-line block ×6, first 2 shown]
	s_and_saveexec_b32 s1, s0
	s_cbranch_execz .LBB0_33
; %bb.32:
	v_add_nc_u32_e32 v12, -8, v40
	v_add_nc_u32_e32 v24, 0x800, v48
	v_add_nc_u32_e32 v25, 0x1000, v48
	v_cndmask_b32_e64 v12, v12, v41, s0
	v_mul_i32_i24_e32 v46, 6, v12
	v_lshlrev_b64 v[12:13], 3, v[46:47]
	v_add_co_u32 v20, s0, s8, v12
	v_add_co_ci_u32_e64 v21, s0, s9, v13, s0
	s_clause 0x2
	global_load_dwordx4 v[12:15], v[20:21], off offset:944
	global_load_dwordx4 v[16:19], v[20:21], off offset:976
	;; [unrolled: 1-line block ×3, first 2 shown]
	s_waitcnt vmcnt(2)
	v_mul_f32_e32 v26, v3, v13
	s_waitcnt vmcnt(1)
	v_mul_f32_e32 v27, v45, v19
	v_mul_f32_e32 v30, v5, v15
	;; [unrolled: 1-line block ×7, first 2 shown]
	s_waitcnt vmcnt(0)
	v_mul_f32_e32 v28, v9, v23
	v_mul_f32_e32 v29, v7, v21
	;; [unrolled: 1-line block ×4, first 2 shown]
	v_fma_f32 v2, v2, v12, -v26
	v_fma_f32 v26, v44, v18, -v27
	;; [unrolled: 1-line block ×4, first 2 shown]
	v_fmac_f32_e32 v19, v45, v18
	v_fmac_f32_e32 v13, v3, v12
	;; [unrolled: 1-line block ×4, first 2 shown]
	v_fma_f32 v8, v8, v22, -v28
	v_fma_f32 v6, v6, v20, -v29
	v_fmac_f32_e32 v21, v7, v20
	v_fmac_f32_e32 v23, v9, v22
	v_sub_f32_e32 v3, v2, v26
	v_sub_f32_e32 v7, v4, v10
	v_add_f32_e32 v9, v13, v19
	v_add_f32_e32 v12, v15, v17
	;; [unrolled: 1-line block ×4, first 2 shown]
	v_sub_f32_e32 v5, v8, v6
	v_add_f32_e32 v11, v21, v23
	v_add_f32_e32 v6, v6, v8
	v_sub_f32_e32 v8, v13, v19
	v_sub_f32_e32 v10, v23, v21
	;; [unrolled: 1-line block ×3, first 2 shown]
	v_add_f32_e32 v18, v12, v9
	v_add_f32_e32 v21, v4, v2
	v_sub_f32_e32 v14, v3, v5
	v_sub_f32_e32 v15, v5, v7
	v_add_f32_e32 v5, v5, v7
	v_sub_f32_e32 v16, v9, v11
	v_sub_f32_e32 v17, v11, v12
	;; [unrolled: 1-line block ×6, first 2 shown]
	v_add_f32_e32 v10, v10, v13
	v_sub_f32_e32 v7, v7, v3
	v_sub_f32_e32 v2, v4, v2
	;; [unrolled: 1-line block ×3, first 2 shown]
	v_add_f32_e32 v11, v11, v18
	v_add_f32_e32 v6, v6, v21
	v_sub_f32_e32 v9, v12, v9
	v_mul_f32_e32 v12, 0xbf08b237, v15
	v_add_f32_e32 v3, v5, v3
	v_mul_f32_e32 v5, 0x3f4a47b2, v16
	v_mul_f32_e32 v13, 0x3d64c772, v17
	;; [unrolled: 1-line block ×4, first 2 shown]
	v_add_f32_e32 v8, v10, v8
	v_mul_f32_e32 v10, 0x3f5ff5aa, v7
	v_mul_f32_e32 v19, 0x3f5ff5aa, v4
	v_add_f32_e32 v1, v1, v11
	v_add_f32_e32 v0, v0, v6
	v_mul_f32_e32 v16, 0x3d64c772, v20
	v_fmamk_f32 v21, v14, 0x3eae86e6, v12
	v_fmamk_f32 v17, v17, 0x3d64c772, v5
	;; [unrolled: 1-line block ×4, first 2 shown]
	v_fma_f32 v10, 0xbeae86e6, v14, -v10
	v_fma_f32 v5, 0xbf3bfb3b, v9, -v5
	;; [unrolled: 1-line block ×7, first 2 shown]
	v_fmamk_f32 v4, v11, 0xbf955555, v1
	v_fmamk_f32 v6, v6, 0xbf955555, v0
	v_fma_f32 v2, 0x3f3bfb3b, v2, -v16
	v_fmac_f32_e32 v21, 0x3ee1c552, v3
	v_fmac_f32_e32 v23, 0x3ee1c552, v8
	;; [unrolled: 1-line block ×5, first 2 shown]
	v_add_f32_e32 v13, v17, v4
	v_add_f32_e32 v16, v20, v6
	;; [unrolled: 1-line block ×3, first 2 shown]
	v_fmac_f32_e32 v10, 0x3ee1c552, v3
	v_add_f32_e32 v11, v5, v4
	v_add_f32_e32 v14, v14, v6
	;; [unrolled: 1-line block ×4, first 2 shown]
	v_sub_f32_e32 v7, v8, v12
	v_add_f32_e32 v9, v12, v8
	v_sub_f32_e32 v13, v13, v21
	v_add_f32_e32 v12, v23, v16
	v_add_f32_e32 v5, v10, v11
	v_sub_f32_e32 v8, v2, v18
	v_sub_f32_e32 v11, v11, v10
	v_add_f32_e32 v10, v15, v14
	v_sub_f32_e32 v4, v14, v15
	v_add_f32_e32 v6, v18, v2
	v_sub_f32_e32 v2, v16, v23
	ds_write2_b64 v48, v[0:1], v[12:13] offset0:112 offset1:232
	ds_write2_b64 v24, v[10:11], v[8:9] offset0:96 offset1:216
	;; [unrolled: 1-line block ×3, first 2 shown]
	ds_write_b64 v48, v[2:3] offset:6656
.LBB0_33:
	s_or_b32 exec_lo, exec_lo, s1
	s_waitcnt lgkmcnt(0)
	s_barrier
	buffer_gl0_inv
	s_and_saveexec_b32 s0, vcc_lo
	s_cbranch_execz .LBB0_35
; %bb.34:
	v_lshl_add_u32 v22, v40, 3, 0
	v_mov_b32_e32 v41, 0
	v_add_nc_u32_e32 v4, 56, v40
	v_add_co_u32 v23, vcc_lo, s2, v42
	ds_read2_b64 v[0:3], v22 offset1:56
	v_mov_b32_e32 v5, v41
	v_lshlrev_b64 v[6:7], 3, v[40:41]
	v_add_co_ci_u32_e32 v24, vcc_lo, s3, v43, vcc_lo
	v_add_nc_u32_e32 v8, 0x70, v40
	v_lshlrev_b64 v[4:5], 3, v[4:5]
	v_mov_b32_e32 v9, v41
	v_add_co_u32 v12, vcc_lo, v23, v6
	v_add_co_ci_u32_e32 v13, vcc_lo, v24, v7, vcc_lo
	v_add_co_u32 v14, vcc_lo, v23, v4
	v_add_co_ci_u32_e32 v15, vcc_lo, v24, v5, vcc_lo
	v_add_nc_u32_e32 v10, 0xa8, v40
	ds_read2_b64 v[4:7], v22 offset0:112 offset1:168
	v_mov_b32_e32 v11, v41
	v_lshlrev_b64 v[8:9], 3, v[8:9]
	s_waitcnt lgkmcnt(1)
	global_store_dwordx2 v[12:13], v[0:1], off
	global_store_dwordx2 v[14:15], v[2:3], off
	v_add_nc_u32_e32 v0, 0x400, v22
	v_add_nc_u32_e32 v12, 0xe0, v40
	v_mov_b32_e32 v13, v41
	v_lshlrev_b64 v[10:11], 3, v[10:11]
	v_add_co_u32 v14, vcc_lo, v23, v8
	ds_read2_b64 v[0:3], v0 offset0:96 offset1:152
	v_add_co_ci_u32_e32 v15, vcc_lo, v24, v9, vcc_lo
	v_lshlrev_b64 v[8:9], 3, v[12:13]
	v_add_co_u32 v12, vcc_lo, v23, v10
	v_add_nc_u32_e32 v25, 0x800, v22
	v_add_co_ci_u32_e32 v13, vcc_lo, v24, v11, vcc_lo
	v_add_co_u32 v18, vcc_lo, v23, v8
	v_add_nc_u32_e32 v16, 0x118, v40
	v_mov_b32_e32 v17, v41
	v_add_co_ci_u32_e32 v19, vcc_lo, v24, v9, vcc_lo
	ds_read2_b64 v[8:11], v25 offset0:80 offset1:136
	v_add_nc_u32_e32 v20, 0x150, v40
	v_mov_b32_e32 v21, v41
	v_lshlrev_b64 v[16:17], 3, v[16:17]
	s_waitcnt lgkmcnt(2)
	global_store_dwordx2 v[14:15], v[4:5], off
	global_store_dwordx2 v[12:13], v[6:7], off
	s_waitcnt lgkmcnt(1)
	global_store_dwordx2 v[18:19], v[0:1], off
	v_add_nc_u32_e32 v6, 0x188, v40
	v_mov_b32_e32 v7, v41
	v_lshlrev_b64 v[0:1], 3, v[20:21]
	v_add_nc_u32_e32 v12, 0x1c0, v40
	v_add_co_u32 v4, vcc_lo, v23, v16
	v_add_co_ci_u32_e32 v5, vcc_lo, v24, v17, vcc_lo
	v_add_co_u32 v0, vcc_lo, v23, v0
	v_add_co_ci_u32_e32 v1, vcc_lo, v24, v1, vcc_lo
	global_store_dwordx2 v[4:5], v[2:3], off
	s_waitcnt lgkmcnt(0)
	global_store_dwordx2 v[0:1], v[8:9], off
	v_mov_b32_e32 v13, v41
	ds_read2_b64 v[0:3], v25 offset0:192 offset1:248
	v_lshlrev_b64 v[4:5], 3, v[6:7]
	v_add_nc_u32_e32 v8, 0x1f8, v40
	v_mov_b32_e32 v9, v41
	v_lshlrev_b64 v[6:7], 3, v[12:13]
	v_add_nc_u32_e32 v12, 0x230, v40
	v_add_nc_u32_e32 v14, 0x1000, v22
	v_add_co_u32 v4, vcc_lo, v23, v4
	v_lshlrev_b64 v[8:9], 3, v[8:9]
	v_add_co_ci_u32_e32 v5, vcc_lo, v24, v5, vcc_lo
	v_add_co_u32 v6, vcc_lo, v23, v6
	v_add_co_ci_u32_e32 v7, vcc_lo, v24, v7, vcc_lo
	v_add_co_u32 v8, vcc_lo, v23, v8
	v_add_co_ci_u32_e32 v9, vcc_lo, v24, v9, vcc_lo
	global_store_dwordx2 v[4:5], v[10:11], off
	s_waitcnt lgkmcnt(0)
	global_store_dwordx2 v[6:7], v[0:1], off
	global_store_dwordx2 v[8:9], v[2:3], off
	v_lshlrev_b64 v[4:5], 3, v[12:13]
	v_add_nc_u32_e32 v6, 0x268, v40
	v_mov_b32_e32 v7, v41
	ds_read2_b64 v[0:3], v14 offset0:48 offset1:104
	v_add_nc_u32_e32 v8, 0x2a0, v40
	v_mov_b32_e32 v9, v41
	v_add_co_u32 v10, vcc_lo, v23, v4
	v_add_co_ci_u32_e32 v11, vcc_lo, v24, v5, vcc_lo
	v_lshlrev_b64 v[12:13], 3, v[6:7]
	ds_read2_b64 v[4:7], v14 offset0:160 offset1:216
	v_add_nc_u32_e32 v14, 0x2d8, v40
	v_mov_b32_e32 v15, v41
	ds_read_b64 v[16:17], v22 offset:6272
	v_lshlrev_b64 v[8:9], 3, v[8:9]
	v_add_nc_u32_e32 v40, 0x310, v40
	v_add_co_u32 v12, vcc_lo, v23, v12
	v_lshlrev_b64 v[14:15], 3, v[14:15]
	v_add_co_ci_u32_e32 v13, vcc_lo, v24, v13, vcc_lo
	v_add_co_u32 v8, vcc_lo, v23, v8
	v_lshlrev_b64 v[18:19], 3, v[40:41]
	v_add_co_ci_u32_e32 v9, vcc_lo, v24, v9, vcc_lo
	v_add_co_u32 v14, vcc_lo, v23, v14
	v_add_co_ci_u32_e32 v15, vcc_lo, v24, v15, vcc_lo
	v_add_co_u32 v18, vcc_lo, v23, v18
	v_add_co_ci_u32_e32 v19, vcc_lo, v24, v19, vcc_lo
	s_waitcnt lgkmcnt(2)
	global_store_dwordx2 v[10:11], v[0:1], off
	global_store_dwordx2 v[12:13], v[2:3], off
	s_waitcnt lgkmcnt(1)
	global_store_dwordx2 v[8:9], v[4:5], off
	global_store_dwordx2 v[14:15], v[6:7], off
	s_waitcnt lgkmcnt(0)
	global_store_dwordx2 v[18:19], v[16:17], off
.LBB0_35:
	s_endpgm
	.section	.rodata,"a",@progbits
	.p2align	6, 0x0
	.amdhsa_kernel fft_rtc_fwd_len840_factors_2_2_2_3_5_7_wgs_56_tpt_56_halfLds_sp_ip_CI_unitstride_sbrr_C2R_dirReg
		.amdhsa_group_segment_fixed_size 0
		.amdhsa_private_segment_fixed_size 0
		.amdhsa_kernarg_size 88
		.amdhsa_user_sgpr_count 6
		.amdhsa_user_sgpr_private_segment_buffer 1
		.amdhsa_user_sgpr_dispatch_ptr 0
		.amdhsa_user_sgpr_queue_ptr 0
		.amdhsa_user_sgpr_kernarg_segment_ptr 1
		.amdhsa_user_sgpr_dispatch_id 0
		.amdhsa_user_sgpr_flat_scratch_init 0
		.amdhsa_user_sgpr_private_segment_size 0
		.amdhsa_wavefront_size32 1
		.amdhsa_uses_dynamic_stack 0
		.amdhsa_system_sgpr_private_segment_wavefront_offset 0
		.amdhsa_system_sgpr_workgroup_id_x 1
		.amdhsa_system_sgpr_workgroup_id_y 0
		.amdhsa_system_sgpr_workgroup_id_z 0
		.amdhsa_system_sgpr_workgroup_info 0
		.amdhsa_system_vgpr_workitem_id 0
		.amdhsa_next_free_vgpr 95
		.amdhsa_next_free_sgpr 21
		.amdhsa_reserve_vcc 1
		.amdhsa_reserve_flat_scratch 0
		.amdhsa_float_round_mode_32 0
		.amdhsa_float_round_mode_16_64 0
		.amdhsa_float_denorm_mode_32 3
		.amdhsa_float_denorm_mode_16_64 3
		.amdhsa_dx10_clamp 1
		.amdhsa_ieee_mode 1
		.amdhsa_fp16_overflow 0
		.amdhsa_workgroup_processor_mode 1
		.amdhsa_memory_ordered 1
		.amdhsa_forward_progress 0
		.amdhsa_shared_vgpr_count 0
		.amdhsa_exception_fp_ieee_invalid_op 0
		.amdhsa_exception_fp_denorm_src 0
		.amdhsa_exception_fp_ieee_div_zero 0
		.amdhsa_exception_fp_ieee_overflow 0
		.amdhsa_exception_fp_ieee_underflow 0
		.amdhsa_exception_fp_ieee_inexact 0
		.amdhsa_exception_int_div_zero 0
	.end_amdhsa_kernel
	.text
.Lfunc_end0:
	.size	fft_rtc_fwd_len840_factors_2_2_2_3_5_7_wgs_56_tpt_56_halfLds_sp_ip_CI_unitstride_sbrr_C2R_dirReg, .Lfunc_end0-fft_rtc_fwd_len840_factors_2_2_2_3_5_7_wgs_56_tpt_56_halfLds_sp_ip_CI_unitstride_sbrr_C2R_dirReg
                                        ; -- End function
	.section	.AMDGPU.csdata,"",@progbits
; Kernel info:
; codeLenInByte = 10396
; NumSgprs: 23
; NumVgprs: 95
; ScratchSize: 0
; MemoryBound: 0
; FloatMode: 240
; IeeeMode: 1
; LDSByteSize: 0 bytes/workgroup (compile time only)
; SGPRBlocks: 2
; VGPRBlocks: 11
; NumSGPRsForWavesPerEU: 23
; NumVGPRsForWavesPerEU: 95
; Occupancy: 10
; WaveLimiterHint : 1
; COMPUTE_PGM_RSRC2:SCRATCH_EN: 0
; COMPUTE_PGM_RSRC2:USER_SGPR: 6
; COMPUTE_PGM_RSRC2:TRAP_HANDLER: 0
; COMPUTE_PGM_RSRC2:TGID_X_EN: 1
; COMPUTE_PGM_RSRC2:TGID_Y_EN: 0
; COMPUTE_PGM_RSRC2:TGID_Z_EN: 0
; COMPUTE_PGM_RSRC2:TIDIG_COMP_CNT: 0
	.text
	.p2alignl 6, 3214868480
	.fill 48, 4, 3214868480
	.type	__hip_cuid_34f100262ac63181,@object ; @__hip_cuid_34f100262ac63181
	.section	.bss,"aw",@nobits
	.globl	__hip_cuid_34f100262ac63181
__hip_cuid_34f100262ac63181:
	.byte	0                               ; 0x0
	.size	__hip_cuid_34f100262ac63181, 1

	.ident	"AMD clang version 19.0.0git (https://github.com/RadeonOpenCompute/llvm-project roc-6.4.0 25133 c7fe45cf4b819c5991fe208aaa96edf142730f1d)"
	.section	".note.GNU-stack","",@progbits
	.addrsig
	.addrsig_sym __hip_cuid_34f100262ac63181
	.amdgpu_metadata
---
amdhsa.kernels:
  - .args:
      - .actual_access:  read_only
        .address_space:  global
        .offset:         0
        .size:           8
        .value_kind:     global_buffer
      - .offset:         8
        .size:           8
        .value_kind:     by_value
      - .actual_access:  read_only
        .address_space:  global
        .offset:         16
        .size:           8
        .value_kind:     global_buffer
      - .actual_access:  read_only
        .address_space:  global
        .offset:         24
        .size:           8
        .value_kind:     global_buffer
      - .offset:         32
        .size:           8
        .value_kind:     by_value
      - .actual_access:  read_only
        .address_space:  global
        .offset:         40
        .size:           8
        .value_kind:     global_buffer
      - .actual_access:  read_only
        .address_space:  global
        .offset:         48
        .size:           8
        .value_kind:     global_buffer
      - .offset:         56
        .size:           4
        .value_kind:     by_value
      - .actual_access:  read_only
        .address_space:  global
        .offset:         64
        .size:           8
        .value_kind:     global_buffer
      - .actual_access:  read_only
        .address_space:  global
        .offset:         72
        .size:           8
        .value_kind:     global_buffer
      - .address_space:  global
        .offset:         80
        .size:           8
        .value_kind:     global_buffer
    .group_segment_fixed_size: 0
    .kernarg_segment_align: 8
    .kernarg_segment_size: 88
    .language:       OpenCL C
    .language_version:
      - 2
      - 0
    .max_flat_workgroup_size: 56
    .name:           fft_rtc_fwd_len840_factors_2_2_2_3_5_7_wgs_56_tpt_56_halfLds_sp_ip_CI_unitstride_sbrr_C2R_dirReg
    .private_segment_fixed_size: 0
    .sgpr_count:     23
    .sgpr_spill_count: 0
    .symbol:         fft_rtc_fwd_len840_factors_2_2_2_3_5_7_wgs_56_tpt_56_halfLds_sp_ip_CI_unitstride_sbrr_C2R_dirReg.kd
    .uniform_work_group_size: 1
    .uses_dynamic_stack: false
    .vgpr_count:     95
    .vgpr_spill_count: 0
    .wavefront_size: 32
    .workgroup_processor_mode: 1
amdhsa.target:   amdgcn-amd-amdhsa--gfx1030
amdhsa.version:
  - 1
  - 2
...

	.end_amdgpu_metadata
